;; amdgpu-corpus repo=zjin-lcf/HeCBench kind=compiled arch=gfx1250 opt=O3
	.amdgcn_target "amdgcn-amd-amdhsa--gfx1250"
	.amdhsa_code_object_version 6
	.text
	.protected	_Z15SumWithinBlocksiPKfPf ; -- Begin function _Z15SumWithinBlocksiPKfPf
	.globl	_Z15SumWithinBlocksiPKfPf
	.p2align	8
	.type	_Z15SumWithinBlocksiPKfPf,@function
_Z15SumWithinBlocksiPKfPf:              ; @_Z15SumWithinBlocksiPKfPf
; %bb.0:
	s_clause 0x1
	s_load_b32 s2, s[0:1], 0x24
	s_load_b32 s10, s[0:1], 0x0
	s_bfe_u32 s3, ttmp6, 0x4000c
	s_and_b32 s4, ttmp6, 15
	s_add_co_i32 s3, s3, 1
	s_getreg_b32 s5, hwreg(HW_REG_IB_STS2, 6, 4)
	s_mul_i32 s3, ttmp9, s3
	v_mov_b32_e32 v3, 0
	s_add_co_i32 s3, s4, s3
	s_cmp_eq_u32 s5, 0
	s_load_b128 s[4:7], s[0:1], 0x8
	s_cselect_b32 s8, ttmp9, s3
	s_mov_b32 s12, 0
	s_mov_b32 s11, exec_lo
	s_wait_kmcnt 0x0
	s_and_b32 s9, s2, 0xffff
	s_delay_alu instid0(SALU_CYCLE_1) | instskip(NEXT) | instid1(VALU_DEP_1)
	v_mad_u32 v2, s8, s9, v0
	v_cmpx_gt_i32_e64 s10, v2
	s_cbranch_execz .LBB0_4
; %bb.1:
	s_add_nc_u64 s[0:1], s[0:1], 24
	v_ashrrev_i32_e32 v3, 31, v2
	s_load_b32 s0, s[0:1], 0x0
	s_delay_alu instid0(VALU_DEP_1) | instskip(SKIP_3) | instid1(SALU_CYCLE_1)
	v_lshl_add_u64 v[4:5], v[2:3], 2, s[4:5]
	v_mov_b32_e32 v3, 0
	s_wait_kmcnt 0x0
	s_mul_i32 s0, s0, s9
	s_ashr_i32 s1, s0, 31
	s_delay_alu instid0(SALU_CYCLE_1)
	s_lshl_b64 s[2:3], s[0:1], 2
.LBB0_2:                                ; =>This Inner Loop Header: Depth=1
	global_load_b32 v1, v[4:5], off
	v_add_nc_u32_e32 v2, s0, v2
	s_wait_xcnt 0x0
	v_add_nc_u64_e32 v[4:5], s[2:3], v[4:5]
	s_wait_loadcnt 0x0
	v_add_f32_e32 v3, v3, v1
	v_cmp_le_i32_e32 vcc_lo, s10, v2
	s_or_b32 s12, vcc_lo, s12
	s_delay_alu instid0(SALU_CYCLE_1)
	s_and_not1_b32 exec_lo, exec_lo, s12
	s_cbranch_execnz .LBB0_2
; %bb.3:
	s_or_b32 exec_lo, exec_lo, s12
.LBB0_4:
	s_delay_alu instid0(SALU_CYCLE_1) | instskip(SKIP_3) | instid1(VALU_DEP_3)
	s_or_b32 exec_lo, exec_lo, s11
	v_or_b32_e32 v2, 0x80, v0
	v_cmp_gt_u32_e32 vcc_lo, 0x80, v0
	v_lshlrev_b32_e32 v1, 2, v0
	v_cmp_gt_u32_e64 s0, s9, v2
	ds_store_b32 v1, v3
	s_wait_dscnt 0x0
	s_barrier_signal -1
	s_and_b32 s1, vcc_lo, s0
	s_barrier_wait -1
	s_and_saveexec_b32 s0, s1
	s_cbranch_execz .LBB0_6
; %bb.5:
	ds_load_2addr_stride64_b32 v[2:3], v1 offset1:2
	s_wait_dscnt 0x0
	v_add_f32_e32 v2, v3, v2
	ds_store_b32 v1, v2
.LBB0_6:
	s_or_b32 exec_lo, exec_lo, s0
	v_or_b32_e32 v2, 64, v0
	v_cmp_gt_u32_e32 vcc_lo, 64, v0
	s_wait_dscnt 0x0
	s_barrier_signal -1
	s_barrier_wait -1
	v_cmp_gt_u32_e64 s0, s9, v2
	s_and_b32 s1, vcc_lo, s0
	s_delay_alu instid0(SALU_CYCLE_1)
	s_and_saveexec_b32 s0, s1
	s_cbranch_execz .LBB0_8
; %bb.7:
	ds_load_2addr_stride64_b32 v[2:3], v1 offset1:1
	s_wait_dscnt 0x0
	v_add_f32_e32 v2, v3, v2
	ds_store_b32 v1, v2
.LBB0_8:
	s_or_b32 exec_lo, exec_lo, s0
	v_or_b32_e32 v2, 32, v0
	v_cmp_gt_u32_e32 vcc_lo, 32, v0
	s_wait_dscnt 0x0
	s_barrier_signal -1
	s_barrier_wait -1
	v_cmp_gt_u32_e64 s0, s9, v2
	s_and_b32 s1, vcc_lo, s0
	s_delay_alu instid0(SALU_CYCLE_1)
	s_and_saveexec_b32 s0, s1
	s_cbranch_execz .LBB0_10
; %bb.9:
	ds_load_2addr_b32 v[2:3], v1 offset1:32
	s_wait_dscnt 0x0
	v_add_f32_e32 v2, v3, v2
	ds_store_b32 v1, v2
.LBB0_10:
	s_or_b32 exec_lo, exec_lo, s0
	v_or_b32_e32 v2, 16, v0
	v_cmp_gt_u32_e32 vcc_lo, 16, v0
	s_wait_dscnt 0x0
	s_barrier_signal -1
	s_barrier_wait -1
	v_cmp_gt_u32_e64 s0, s9, v2
	s_and_b32 s1, vcc_lo, s0
	s_delay_alu instid0(SALU_CYCLE_1)
	s_and_saveexec_b32 s0, s1
	s_cbranch_execz .LBB0_12
; %bb.11:
	ds_load_2addr_b32 v[2:3], v1 offset1:16
	s_wait_dscnt 0x0
	v_add_f32_e32 v2, v3, v2
	ds_store_b32 v1, v2
.LBB0_12:
	;; [unrolled: 17-line block ×5, first 2 shown]
	s_or_b32 exec_lo, exec_lo, s0
	v_cmp_eq_u32_e32 vcc_lo, 0, v0
	s_cmp_gt_u32 s9, 1
	s_wait_dscnt 0x0
	s_cselect_b32 s0, -1, 0
	s_barrier_signal -1
	s_and_b32 s1, vcc_lo, s0
	s_barrier_wait -1
	s_and_saveexec_b32 s0, s1
	s_cbranch_execz .LBB0_20
; %bb.19:
	v_mov_b32_e32 v0, 0
	ds_load_b32 v0, v0 offset:4
	ds_load_b32 v2, v1
	s_wait_dscnt 0x0
	v_add_f32_e32 v0, v0, v2
	ds_store_b32 v1, v0
.LBB0_20:
	s_or_b32 exec_lo, exec_lo, s0
	s_wait_dscnt 0x0
	s_barrier_signal -1
	s_barrier_wait -1
	s_and_saveexec_b32 s0, vcc_lo
	s_cbranch_execz .LBB0_22
; %bb.21:
	v_dual_mov_b32 v0, 0 :: v_dual_mov_b32 v1, s8
	ds_load_b32 v0, v0
	s_wait_dscnt 0x0
	global_store_b32 v1, v0, s[6:7] scale_offset
.LBB0_22:
	s_endpgm
	.section	.rodata,"a",@progbits
	.p2align	6, 0x0
	.amdhsa_kernel _Z15SumWithinBlocksiPKfPf
		.amdhsa_group_segment_fixed_size 2048
		.amdhsa_private_segment_fixed_size 0
		.amdhsa_kernarg_size 280
		.amdhsa_user_sgpr_count 2
		.amdhsa_user_sgpr_dispatch_ptr 0
		.amdhsa_user_sgpr_queue_ptr 0
		.amdhsa_user_sgpr_kernarg_segment_ptr 1
		.amdhsa_user_sgpr_dispatch_id 0
		.amdhsa_user_sgpr_kernarg_preload_length 0
		.amdhsa_user_sgpr_kernarg_preload_offset 0
		.amdhsa_user_sgpr_private_segment_size 0
		.amdhsa_wavefront_size32 1
		.amdhsa_uses_dynamic_stack 0
		.amdhsa_enable_private_segment 0
		.amdhsa_system_sgpr_workgroup_id_x 1
		.amdhsa_system_sgpr_workgroup_id_y 0
		.amdhsa_system_sgpr_workgroup_id_z 0
		.amdhsa_system_sgpr_workgroup_info 0
		.amdhsa_system_vgpr_workitem_id 0
		.amdhsa_next_free_vgpr 6
		.amdhsa_next_free_sgpr 13
		.amdhsa_named_barrier_count 0
		.amdhsa_reserve_vcc 1
		.amdhsa_float_round_mode_32 0
		.amdhsa_float_round_mode_16_64 0
		.amdhsa_float_denorm_mode_32 3
		.amdhsa_float_denorm_mode_16_64 3
		.amdhsa_fp16_overflow 0
		.amdhsa_memory_ordered 1
		.amdhsa_forward_progress 1
		.amdhsa_inst_pref_size 7
		.amdhsa_round_robin_scheduling 0
		.amdhsa_exception_fp_ieee_invalid_op 0
		.amdhsa_exception_fp_denorm_src 0
		.amdhsa_exception_fp_ieee_div_zero 0
		.amdhsa_exception_fp_ieee_overflow 0
		.amdhsa_exception_fp_ieee_underflow 0
		.amdhsa_exception_fp_ieee_inexact 0
		.amdhsa_exception_int_div_zero 0
	.end_amdhsa_kernel
	.text
.Lfunc_end0:
	.size	_Z15SumWithinBlocksiPKfPf, .Lfunc_end0-_Z15SumWithinBlocksiPKfPf
                                        ; -- End function
	.set _Z15SumWithinBlocksiPKfPf.num_vgpr, 6
	.set _Z15SumWithinBlocksiPKfPf.num_agpr, 0
	.set _Z15SumWithinBlocksiPKfPf.numbered_sgpr, 13
	.set _Z15SumWithinBlocksiPKfPf.num_named_barrier, 0
	.set _Z15SumWithinBlocksiPKfPf.private_seg_size, 0
	.set _Z15SumWithinBlocksiPKfPf.uses_vcc, 1
	.set _Z15SumWithinBlocksiPKfPf.uses_flat_scratch, 0
	.set _Z15SumWithinBlocksiPKfPf.has_dyn_sized_stack, 0
	.set _Z15SumWithinBlocksiPKfPf.has_recursion, 0
	.set _Z15SumWithinBlocksiPKfPf.has_indirect_call, 0
	.section	.AMDGPU.csdata,"",@progbits
; Kernel info:
; codeLenInByte = 880
; TotalNumSgprs: 15
; NumVgprs: 6
; ScratchSize: 0
; MemoryBound: 0
; FloatMode: 240
; IeeeMode: 1
; LDSByteSize: 2048 bytes/workgroup (compile time only)
; SGPRBlocks: 0
; VGPRBlocks: 0
; NumSGPRsForWavesPerEU: 15
; NumVGPRsForWavesPerEU: 6
; NamedBarCnt: 0
; Occupancy: 16
; WaveLimiterHint : 0
; COMPUTE_PGM_RSRC2:SCRATCH_EN: 0
; COMPUTE_PGM_RSRC2:USER_SGPR: 2
; COMPUTE_PGM_RSRC2:TRAP_HANDLER: 0
; COMPUTE_PGM_RSRC2:TGID_X_EN: 1
; COMPUTE_PGM_RSRC2:TGID_Y_EN: 0
; COMPUTE_PGM_RSRC2:TGID_Z_EN: 0
; COMPUTE_PGM_RSRC2:TIDIG_COMP_CNT: 0
	.text
	.protected	_Z7initranjPj           ; -- Begin function _Z7initranjPj
	.globl	_Z7initranjPj
	.p2align	8
	.type	_Z7initranjPj,@function
_Z7initranjPj:                          ; @_Z7initranjPj
; %bb.0:
	s_clause 0x1
	s_load_b32 s2, s[0:1], 0x1c
	s_load_b32 s5, s[0:1], 0x0
	s_bfe_u32 s4, ttmp6, 0x4000c
	s_and_b32 s3, ttmp6, 15
	s_add_co_i32 s4, s4, 1
	s_getreg_b32 s6, hwreg(HW_REG_IB_STS2, 6, 4)
	s_mul_i32 s4, ttmp9, s4
	s_wait_xcnt 0x0
	s_load_b64 s[0:1], s[0:1], 0x8
	s_add_co_i32 s3, s3, s4
	s_wait_kmcnt 0x0
	s_and_b32 s2, s2, 0xffff
	s_cmp_eq_u32 s6, 0
	s_cselect_b32 s3, ttmp9, s3
	s_delay_alu instid0(SALU_CYCLE_1) | instskip(NEXT) | instid1(VALU_DEP_1)
	v_mad_u32 v0, s3, s2, v0
	v_xor_b32_e32 v1, s5, v0
	s_delay_alu instid0(VALU_DEP_1) | instskip(NEXT) | instid1(VALU_DEP_1)
	v_mad_u32 v1, 0x1984a2d, v1, 1
	v_and_b32_e32 v1, 0x7fffffff, v1
	global_store_b32 v0, v1, s[0:1] scale_offset
	s_endpgm
	.section	.rodata,"a",@progbits
	.p2align	6, 0x0
	.amdhsa_kernel _Z7initranjPj
		.amdhsa_group_segment_fixed_size 0
		.amdhsa_private_segment_fixed_size 0
		.amdhsa_kernarg_size 272
		.amdhsa_user_sgpr_count 2
		.amdhsa_user_sgpr_dispatch_ptr 0
		.amdhsa_user_sgpr_queue_ptr 0
		.amdhsa_user_sgpr_kernarg_segment_ptr 1
		.amdhsa_user_sgpr_dispatch_id 0
		.amdhsa_user_sgpr_kernarg_preload_length 0
		.amdhsa_user_sgpr_kernarg_preload_offset 0
		.amdhsa_user_sgpr_private_segment_size 0
		.amdhsa_wavefront_size32 1
		.amdhsa_uses_dynamic_stack 0
		.amdhsa_enable_private_segment 0
		.amdhsa_system_sgpr_workgroup_id_x 1
		.amdhsa_system_sgpr_workgroup_id_y 0
		.amdhsa_system_sgpr_workgroup_id_z 0
		.amdhsa_system_sgpr_workgroup_info 0
		.amdhsa_system_vgpr_workitem_id 0
		.amdhsa_next_free_vgpr 2
		.amdhsa_next_free_sgpr 7
		.amdhsa_named_barrier_count 0
		.amdhsa_reserve_vcc 0
		.amdhsa_float_round_mode_32 0
		.amdhsa_float_round_mode_16_64 0
		.amdhsa_float_denorm_mode_32 3
		.amdhsa_float_denorm_mode_16_64 3
		.amdhsa_fp16_overflow 0
		.amdhsa_memory_ordered 1
		.amdhsa_forward_progress 1
		.amdhsa_inst_pref_size 2
		.amdhsa_round_robin_scheduling 0
		.amdhsa_exception_fp_ieee_invalid_op 0
		.amdhsa_exception_fp_denorm_src 0
		.amdhsa_exception_fp_ieee_div_zero 0
		.amdhsa_exception_fp_ieee_overflow 0
		.amdhsa_exception_fp_ieee_underflow 0
		.amdhsa_exception_fp_ieee_inexact 0
		.amdhsa_exception_int_div_zero 0
	.end_amdhsa_kernel
	.text
.Lfunc_end1:
	.size	_Z7initranjPj, .Lfunc_end1-_Z7initranjPj
                                        ; -- End function
	.set _Z7initranjPj.num_vgpr, 2
	.set _Z7initranjPj.num_agpr, 0
	.set _Z7initranjPj.numbered_sgpr, 7
	.set _Z7initranjPj.num_named_barrier, 0
	.set _Z7initranjPj.private_seg_size, 0
	.set _Z7initranjPj.uses_vcc, 0
	.set _Z7initranjPj.uses_flat_scratch, 0
	.set _Z7initranjPj.has_dyn_sized_stack, 0
	.set _Z7initranjPj.has_recursion, 0
	.set _Z7initranjPj.has_indirect_call, 0
	.section	.AMDGPU.csdata,"",@progbits
; Kernel info:
; codeLenInByte = 136
; TotalNumSgprs: 7
; NumVgprs: 2
; ScratchSize: 0
; MemoryBound: 0
; FloatMode: 240
; IeeeMode: 1
; LDSByteSize: 0 bytes/workgroup (compile time only)
; SGPRBlocks: 0
; VGPRBlocks: 0
; NumSGPRsForWavesPerEU: 7
; NumVGPRsForWavesPerEU: 2
; NamedBarCnt: 0
; Occupancy: 16
; WaveLimiterHint : 0
; COMPUTE_PGM_RSRC2:SCRATCH_EN: 0
; COMPUTE_PGM_RSRC2:USER_SGPR: 2
; COMPUTE_PGM_RSRC2:TRAP_HANDLER: 0
; COMPUTE_PGM_RSRC2:TGID_X_EN: 1
; COMPUTE_PGM_RSRC2:TGID_Y_EN: 0
; COMPUTE_PGM_RSRC2:TGID_Z_EN: 0
; COMPUTE_PGM_RSRC2:TIDIG_COMP_CNT: 0
	.text
	.protected	_Z10zero_statsiPf       ; -- Begin function _Z10zero_statsiPf
	.globl	_Z10zero_statsiPf
	.p2align	8
	.type	_Z10zero_statsiPf,@function
_Z10zero_statsiPf:                      ; @_Z10zero_statsiPf
; %bb.0:
	s_clause 0x1
	s_load_b32 s2, s[0:1], 0x0
	s_load_b32 s4, s[0:1], 0x1c
	s_bfe_u32 s3, ttmp6, 0x4000c
	s_and_b32 s5, ttmp6, 15
	s_add_co_i32 s3, s3, 1
	s_getreg_b32 s6, hwreg(HW_REG_IB_STS2, 6, 4)
	s_mul_i32 s3, ttmp9, s3
	s_wait_xcnt 0x0
	s_load_b64 s[0:1], s[0:1], 0x8
	s_add_co_i32 s5, s5, s3
	v_mov_b32_e32 v4, 0
	s_wait_kmcnt 0x0
	s_ashr_i32 s3, s2, 31
	s_and_b32 s4, s4, 0xffff
	s_cmp_eq_u32 s6, 0
	s_cselect_b32 s5, ttmp9, s5
	s_delay_alu instid0(SALU_CYCLE_1) | instskip(NEXT) | instid1(VALU_DEP_1)
	v_mad_u32 v0, s5, s4, v0
	v_ashrrev_i32_e32 v1, 31, v0
	s_delay_alu instid0(VALU_DEP_1) | instskip(SKIP_1) | instid1(VALU_DEP_2)
	v_lshl_add_u64 v[2:3], v[0:1], 2, s[0:1]
	v_add3_u32 v1, s2, s2, v0
	v_lshl_add_u64 v[2:3], s[2:3], 2, v[2:3]
	s_delay_alu instid0(VALU_DEP_2)
	v_add_nc_u32_e32 v5, s2, v1
	s_clause 0x3
	global_store_b32 v0, v4, s[0:1] scale_offset
	global_store_b32 v[2:3], v4, off
	global_store_b32 v1, v4, s[0:1] scale_offset
	global_store_b32 v5, v4, s[0:1] scale_offset
	s_endpgm
	.section	.rodata,"a",@progbits
	.p2align	6, 0x0
	.amdhsa_kernel _Z10zero_statsiPf
		.amdhsa_group_segment_fixed_size 0
		.amdhsa_private_segment_fixed_size 0
		.amdhsa_kernarg_size 272
		.amdhsa_user_sgpr_count 2
		.amdhsa_user_sgpr_dispatch_ptr 0
		.amdhsa_user_sgpr_queue_ptr 0
		.amdhsa_user_sgpr_kernarg_segment_ptr 1
		.amdhsa_user_sgpr_dispatch_id 0
		.amdhsa_user_sgpr_kernarg_preload_length 0
		.amdhsa_user_sgpr_kernarg_preload_offset 0
		.amdhsa_user_sgpr_private_segment_size 0
		.amdhsa_wavefront_size32 1
		.amdhsa_uses_dynamic_stack 0
		.amdhsa_enable_private_segment 0
		.amdhsa_system_sgpr_workgroup_id_x 1
		.amdhsa_system_sgpr_workgroup_id_y 0
		.amdhsa_system_sgpr_workgroup_id_z 0
		.amdhsa_system_sgpr_workgroup_info 0
		.amdhsa_system_vgpr_workitem_id 0
		.amdhsa_next_free_vgpr 6
		.amdhsa_next_free_sgpr 7
		.amdhsa_named_barrier_count 0
		.amdhsa_reserve_vcc 0
		.amdhsa_float_round_mode_32 0
		.amdhsa_float_round_mode_16_64 0
		.amdhsa_float_denorm_mode_32 3
		.amdhsa_float_denorm_mode_16_64 3
		.amdhsa_fp16_overflow 0
		.amdhsa_memory_ordered 1
		.amdhsa_forward_progress 1
		.amdhsa_inst_pref_size 2
		.amdhsa_round_robin_scheduling 0
		.amdhsa_exception_fp_ieee_invalid_op 0
		.amdhsa_exception_fp_denorm_src 0
		.amdhsa_exception_fp_ieee_div_zero 0
		.amdhsa_exception_fp_ieee_overflow 0
		.amdhsa_exception_fp_ieee_underflow 0
		.amdhsa_exception_fp_ieee_inexact 0
		.amdhsa_exception_int_div_zero 0
	.end_amdhsa_kernel
	.text
.Lfunc_end2:
	.size	_Z10zero_statsiPf, .Lfunc_end2-_Z10zero_statsiPf
                                        ; -- End function
	.set _Z10zero_statsiPf.num_vgpr, 6
	.set _Z10zero_statsiPf.num_agpr, 0
	.set _Z10zero_statsiPf.numbered_sgpr, 7
	.set _Z10zero_statsiPf.num_named_barrier, 0
	.set _Z10zero_statsiPf.private_seg_size, 0
	.set _Z10zero_statsiPf.uses_vcc, 0
	.set _Z10zero_statsiPf.uses_flat_scratch, 0
	.set _Z10zero_statsiPf.has_dyn_sized_stack, 0
	.set _Z10zero_statsiPf.has_recursion, 0
	.set _Z10zero_statsiPf.has_indirect_call, 0
	.section	.AMDGPU.csdata,"",@progbits
; Kernel info:
; codeLenInByte = 196
; TotalNumSgprs: 7
; NumVgprs: 6
; ScratchSize: 0
; MemoryBound: 0
; FloatMode: 240
; IeeeMode: 1
; LDSByteSize: 0 bytes/workgroup (compile time only)
; SGPRBlocks: 0
; VGPRBlocks: 0
; NumSGPRsForWavesPerEU: 7
; NumVGPRsForWavesPerEU: 6
; NamedBarCnt: 0
; Occupancy: 16
; WaveLimiterHint : 0
; COMPUTE_PGM_RSRC2:SCRATCH_EN: 0
; COMPUTE_PGM_RSRC2:USER_SGPR: 2
; COMPUTE_PGM_RSRC2:TRAP_HANDLER: 0
; COMPUTE_PGM_RSRC2:TGID_X_EN: 1
; COMPUTE_PGM_RSRC2:TGID_Y_EN: 0
; COMPUTE_PGM_RSRC2:TGID_Z_EN: 0
; COMPUTE_PGM_RSRC2:TIDIG_COMP_CNT: 0
	.text
	.protected	_Z10initializePfS_S_S_S_S_S_Pj ; -- Begin function _Z10initializePfS_S_S_S_S_S_Pj
	.globl	_Z10initializePfS_S_S_S_S_S_Pj
	.p2align	8
	.type	_Z10initializePfS_S_S_S_S_S_Pj,@function
_Z10initializePfS_S_S_S_S_S_Pj:         ; @_Z10initializePfS_S_S_S_S_S_Pj
; %bb.0:
	s_load_b32 s2, s[0:1], 0x4c
	s_bfe_u32 s3, ttmp6, 0x4000c
	s_load_b256 s[4:11], s[0:1], 0x20
	s_add_co_i32 s3, s3, 1
	s_and_b32 s12, ttmp6, 15
	s_mul_i32 s3, ttmp9, s3
	s_getreg_b32 s13, hwreg(HW_REG_IB_STS2, 6, 4)
	s_add_co_i32 s12, s12, s3
	s_mov_b32 s14, 0x18e43479
	s_wait_kmcnt 0x0
	s_and_b32 s2, s2, 0xffff
	s_cmp_eq_u32 s13, 0
	s_mov_b32 s13, 0x309c3efd
	s_cselect_b32 s3, ttmp9, s12
	s_mov_b32 s12, 0x6dc9da11
	v_mad_u32 v14, s3, s2, v0
	s_mov_b32 s2, 0x84ee0be9
	s_mov_b32 s3, 0x28a171f5
	global_load_b32 v0, v14, s[10:11] scale_offset
	s_wait_loadcnt 0x0
	v_mad_u32 v1, v0, s3, 0x86865617
	v_mad_u32 v2, 0x1984a2d, v0, 1
	;; [unrolled: 1-line block ×6, first 2 shown]
	s_brev_b32 s2, 12
	s_load_b256 s[12:19], s[0:1], 0x0
	v_and_b32_e32 v1, 0x7fffffff, v1
	v_and_b32_e32 v6, 0x7fffffff, v2
	;; [unrolled: 1-line block ×6, first 2 shown]
	v_cvt_f32_u32_e32 v1, v1
	v_cvt_f32_u32_e32 v3, v2
	;; [unrolled: 1-line block ×6, first 2 shown]
	s_delay_alu instid0(VALU_DEP_4) | instskip(NEXT) | instid1(VALU_DEP_4)
	v_pk_fma_f32 v[2:3], v[2:3], s[2:3], -0.5 op_sel_hi:[1,0,0]
	v_pk_fma_f32 v[6:7], v[0:1], s[2:3], -0.5 op_sel_hi:[1,0,0]
	s_delay_alu instid0(VALU_DEP_3) | instskip(NEXT) | instid1(VALU_DEP_3)
	v_pk_fma_f32 v[8:9], v[4:5], s[2:3], -0.5 op_sel_hi:[1,0,0]
	v_pk_mul_f32 v[0:1], v[2:3], 4.0 op_sel_hi:[1,0]
	s_delay_alu instid0(VALU_DEP_3) | instskip(NEXT) | instid1(VALU_DEP_3)
	v_pk_mul_f32 v[4:5], v[6:7], 4.0 op_sel_hi:[1,0]
	v_pk_mul_f32 v[2:3], v[8:9], 4.0 op_sel_hi:[1,0]
	s_delay_alu instid0(VALU_DEP_3) | instskip(NEXT) | instid1(VALU_DEP_3)
	v_pk_mul_f32 v[8:9], v[0:1], v[0:1]
	v_pk_mul_f32 v[10:11], v[4:5], v[4:5]
	s_delay_alu instid0(VALU_DEP_3) | instskip(SKIP_1) | instid1(VALU_DEP_2)
	v_pk_mul_f32 v[12:13], v[2:3], v[2:3]
	v_pk_fma_f32 v[6:7], v[6:7], 4.0, v[2:3] op_sel_hi:[1,0,1] neg_lo:[0,0,1] neg_hi:[0,0,1]
	v_dual_add_f32 v8, v10, v8 :: v_dual_add_f32 v9, v12, v9
	s_delay_alu instid0(VALU_DEP_2) | instskip(NEXT) | instid1(VALU_DEP_2)
	v_pk_mul_f32 v[6:7], v[6:7], v[6:7]
	v_dual_add_f32 v8, v8, v11 :: v_dual_add_f32 v9, v9, v13
	s_delay_alu instid0(VALU_DEP_1) | instskip(SKIP_1) | instid1(VALU_DEP_3)
	v_mul_f32_e32 v10, 0x4f800000, v8
	v_cmp_gt_f32_e32 vcc_lo, 0xf800000, v8
	v_mul_f32_e32 v11, 0x4f800000, v9
	v_cmp_gt_f32_e64 s2, 0xf800000, v9
	s_delay_alu instid0(VALU_DEP_1) | instskip(NEXT) | instid1(VALU_DEP_1)
	v_dual_cndmask_b32 v8, v8, v10, vcc_lo :: v_dual_cndmask_b32 v9, v9, v11, s2
	v_sqrt_f32_e32 v10, v8
	s_delay_alu instid0(VALU_DEP_1) | instskip(NEXT) | instid1(TRANS32_DEP_2)
	v_sqrt_f32_e32 v11, v9
	v_dual_add_nc_u32 v12, -1, v10 :: v_dual_add_nc_u32 v16, 1, v10
	s_delay_alu instid0(TRANS32_DEP_1) | instskip(SKIP_1) | instid1(VALU_DEP_2)
	v_dual_add_nc_u32 v17, 1, v11 :: v_dual_add_nc_u32 v13, -1, v11
	v_sub_f32_e32 v19, v0, v1
	v_dual_fma_f32 v18, -v12, v10, v8 :: v_dual_fma_f32 v22, -v17, v11, v9
	s_delay_alu instid0(VALU_DEP_3) | instskip(NEXT) | instid1(VALU_DEP_2)
	v_fma_f32 v20, -v13, v11, v9
	v_cmp_ge_f32_e64 s3, 0, v18
	s_delay_alu instid0(VALU_DEP_1) | instskip(NEXT) | instid1(VALU_DEP_3)
	v_dual_fma_f32 v21, -v16, v10, v8 :: v_dual_cndmask_b32 v10, v10, v12, s3
	v_cmp_ge_f32_e64 s3, 0, v20
	s_delay_alu instid0(VALU_DEP_1) | instskip(NEXT) | instid1(VALU_DEP_3)
	v_cndmask_b32_e64 v11, v11, v13, s3
	v_cmp_lt_f32_e64 s3, 0, v21
	s_delay_alu instid0(VALU_DEP_1) | instskip(SKIP_1) | instid1(VALU_DEP_2)
	v_cndmask_b32_e64 v10, v10, v16, s3
	v_cmp_lt_f32_e64 s3, 0, v22
	v_mul_f32_e32 v12, 0x37800000, v10
	v_fma_f32 v6, v19, v19, v6
	s_delay_alu instid0(VALU_DEP_1) | instskip(NEXT) | instid1(VALU_DEP_1)
	v_dual_cndmask_b32 v11, v11, v17, s3 :: v_dual_add_f32 v6, v6, v7
	v_mul_f32_e32 v13, 0x37800000, v11
	s_delay_alu instid0(VALU_DEP_4) | instskip(SKIP_1) | instid1(VALU_DEP_3)
	v_cndmask_b32_e32 v7, v10, v12, vcc_lo
	v_cmp_class_f32_e64 vcc_lo, v8, 0x260
	v_cndmask_b32_e64 v10, v11, v13, s2
	s_delay_alu instid0(VALU_DEP_3) | instskip(SKIP_1) | instid1(VALU_DEP_3)
	v_cndmask_b32_e32 v7, v7, v8, vcc_lo
	v_cmp_class_f32_e64 vcc_lo, v9, 0x260
	v_dual_mul_f32 v11, 0x4f800000, v6 :: v_dual_cndmask_b32 v8, v10, v9
	v_cmp_gt_f32_e32 vcc_lo, 0xf800000, v6
	s_delay_alu instid0(VALU_DEP_2) | instskip(NEXT) | instid1(VALU_DEP_1)
	v_dual_add_f32 v7, v7, v8 :: v_dual_cndmask_b32 v6, v6, v11
	v_sqrt_f32_e32 v8, v6
	v_nop
	s_delay_alu instid0(TRANS32_DEP_1) | instskip(NEXT) | instid1(VALU_DEP_1)
	v_dual_add_nc_u32 v9, -1, v8 :: v_dual_add_nc_u32 v11, 1, v8
	v_dual_mul_f32 v7, -2.0, v7 :: v_dual_fma_f32 v12, -v9, v8, v6
	s_delay_alu instid0(VALU_DEP_1) | instskip(NEXT) | instid1(VALU_DEP_2)
	v_mul_f32_e32 v10, 0x3fb8aa3b, v7
	v_cmp_ge_f32_e64 s2, 0, v12
	s_delay_alu instid0(VALU_DEP_4) | instskip(NEXT) | instid1(VALU_DEP_3)
	v_fma_f32 v17, -v11, v8, v6
	v_fma_f32 v13, 0x3fb8aa3b, v7, -v10
	v_rndne_f32_e32 v16, v10
	s_delay_alu instid0(VALU_DEP_4) | instskip(NEXT) | instid1(VALU_DEP_4)
	v_cndmask_b32_e64 v8, v8, v9, s2
	v_cmp_lt_f32_e64 s2, 0, v17
	s_delay_alu instid0(VALU_DEP_3) | instskip(NEXT) | instid1(VALU_DEP_2)
	v_dual_fmamk_f32 v9, v7, 0x32a5705f, v13 :: v_dual_sub_f32 v10, v10, v16
	v_cndmask_b32_e64 v8, v8, v11, s2
	v_cvt_i32_f32_e32 v11, v16
	s_delay_alu instid0(VALU_DEP_2) | instskip(NEXT) | instid1(VALU_DEP_1)
	v_dual_add_f32 v9, v10, v9 :: v_dual_mul_f32 v10, 0x37800000, v8
	v_exp_f32_e32 v9, v9
	s_delay_alu instid0(VALU_DEP_1) | instskip(SKIP_1) | instid1(TRANS32_DEP_1)
	v_cndmask_b32_e32 v8, v8, v10, vcc_lo
	v_cmp_class_f32_e64 vcc_lo, v6, 0x260
	v_ldexp_f32 v9, v9, v11
	s_delay_alu instid0(VALU_DEP_3) | instskip(SKIP_1) | instid1(VALU_DEP_3)
	v_cndmask_b32_e32 v6, v8, v6, vcc_lo
	v_cmp_ngt_f32_e32 vcc_lo, 0xc2ce8ed0, v7
	v_cndmask_b32_e32 v8, 0, v9, vcc_lo
	v_cmp_nlt_f32_e32 vcc_lo, 0x42b17218, v7
	s_delay_alu instid0(VALU_DEP_4) | instskip(NEXT) | instid1(VALU_DEP_3)
	v_fma_f32 v6, v6, 0.5, 1.0
	v_cndmask_b32_e32 v7, 0x7f800000, v8, vcc_lo
	s_delay_alu instid0(VALU_DEP_1)
	v_mul_f32_e32 v6, v6, v7
	s_wait_kmcnt 0x0
	s_clause 0x7
	global_store_b32 v14, v4, s[12:13] scale_offset
	global_store_b32 v14, v0, s[14:15] scale_offset
	;; [unrolled: 1-line block ×8, first 2 shown]
	s_endpgm
	.section	.rodata,"a",@progbits
	.p2align	6, 0x0
	.amdhsa_kernel _Z10initializePfS_S_S_S_S_S_Pj
		.amdhsa_group_segment_fixed_size 0
		.amdhsa_private_segment_fixed_size 0
		.amdhsa_kernarg_size 320
		.amdhsa_user_sgpr_count 2
		.amdhsa_user_sgpr_dispatch_ptr 0
		.amdhsa_user_sgpr_queue_ptr 0
		.amdhsa_user_sgpr_kernarg_segment_ptr 1
		.amdhsa_user_sgpr_dispatch_id 0
		.amdhsa_user_sgpr_kernarg_preload_length 0
		.amdhsa_user_sgpr_kernarg_preload_offset 0
		.amdhsa_user_sgpr_private_segment_size 0
		.amdhsa_wavefront_size32 1
		.amdhsa_uses_dynamic_stack 0
		.amdhsa_enable_private_segment 0
		.amdhsa_system_sgpr_workgroup_id_x 1
		.amdhsa_system_sgpr_workgroup_id_y 0
		.amdhsa_system_sgpr_workgroup_id_z 0
		.amdhsa_system_sgpr_workgroup_info 0
		.amdhsa_system_vgpr_workitem_id 0
		.amdhsa_next_free_vgpr 23
		.amdhsa_next_free_sgpr 20
		.amdhsa_named_barrier_count 0
		.amdhsa_reserve_vcc 1
		.amdhsa_float_round_mode_32 0
		.amdhsa_float_round_mode_16_64 0
		.amdhsa_float_denorm_mode_32 3
		.amdhsa_float_denorm_mode_16_64 3
		.amdhsa_fp16_overflow 0
		.amdhsa_memory_ordered 1
		.amdhsa_forward_progress 1
		.amdhsa_inst_pref_size 9
		.amdhsa_round_robin_scheduling 0
		.amdhsa_exception_fp_ieee_invalid_op 0
		.amdhsa_exception_fp_denorm_src 0
		.amdhsa_exception_fp_ieee_div_zero 0
		.amdhsa_exception_fp_ieee_overflow 0
		.amdhsa_exception_fp_ieee_underflow 0
		.amdhsa_exception_fp_ieee_inexact 0
		.amdhsa_exception_int_div_zero 0
	.end_amdhsa_kernel
	.text
.Lfunc_end3:
	.size	_Z10initializePfS_S_S_S_S_S_Pj, .Lfunc_end3-_Z10initializePfS_S_S_S_S_S_Pj
                                        ; -- End function
	.set _Z10initializePfS_S_S_S_S_S_Pj.num_vgpr, 23
	.set _Z10initializePfS_S_S_S_S_S_Pj.num_agpr, 0
	.set _Z10initializePfS_S_S_S_S_S_Pj.numbered_sgpr, 20
	.set _Z10initializePfS_S_S_S_S_S_Pj.num_named_barrier, 0
	.set _Z10initializePfS_S_S_S_S_S_Pj.private_seg_size, 0
	.set _Z10initializePfS_S_S_S_S_S_Pj.uses_vcc, 1
	.set _Z10initializePfS_S_S_S_S_S_Pj.uses_flat_scratch, 0
	.set _Z10initializePfS_S_S_S_S_S_Pj.has_dyn_sized_stack, 0
	.set _Z10initializePfS_S_S_S_S_S_Pj.has_recursion, 0
	.set _Z10initializePfS_S_S_S_S_S_Pj.has_indirect_call, 0
	.section	.AMDGPU.csdata,"",@progbits
; Kernel info:
; codeLenInByte = 1072
; TotalNumSgprs: 22
; NumVgprs: 23
; ScratchSize: 0
; MemoryBound: 0
; FloatMode: 240
; IeeeMode: 1
; LDSByteSize: 0 bytes/workgroup (compile time only)
; SGPRBlocks: 0
; VGPRBlocks: 1
; NumSGPRsForWavesPerEU: 22
; NumVGPRsForWavesPerEU: 23
; NamedBarCnt: 0
; Occupancy: 16
; WaveLimiterHint : 0
; COMPUTE_PGM_RSRC2:SCRATCH_EN: 0
; COMPUTE_PGM_RSRC2:USER_SGPR: 2
; COMPUTE_PGM_RSRC2:TRAP_HANDLER: 0
; COMPUTE_PGM_RSRC2:TGID_X_EN: 1
; COMPUTE_PGM_RSRC2:TGID_Y_EN: 0
; COMPUTE_PGM_RSRC2:TGID_Z_EN: 0
; COMPUTE_PGM_RSRC2:TIDIG_COMP_CNT: 0
	.text
	.protected	_Z9propagateiiPfS_S_S_S_S_S_S_Pj ; -- Begin function _Z9propagateiiPfS_S_S_S_S_S_S_Pj
	.globl	_Z9propagateiiPfS_S_S_S_S_S_S_Pj
	.p2align	8
	.type	_Z9propagateiiPfS_S_S_S_S_S_S_Pj,@function
_Z9propagateiiPfS_S_S_S_S_S_S_Pj:       ; @_Z9propagateiiPfS_S_S_S_S_S_S_Pj
; %bb.0:
	s_load_b32 s2, s[0:1], 0x5c
	s_bfe_u32 s4, ttmp6, 0x4000c
	s_load_b256 s[12:19], s[0:1], 0x0
	s_add_co_i32 s4, s4, 1
	s_and_b32 s3, ttmp6, 15
	s_mul_i32 s21, ttmp9, s4
	s_getreg_b32 s20, hwreg(HW_REG_IB_STS2, 6, 4)
	s_load_b256 s[4:11], s[0:1], 0x20
	s_add_co_i32 s3, s3, s21
	s_wait_kmcnt 0x0
	s_and_b32 s2, s2, 0xffff
	s_cmp_eq_u32 s20, 0
	s_cselect_b32 s3, ttmp9, s3
	s_cmp_lt_i32 s13, 1
	v_mad_u32 v6, s3, s2, v0
	s_clause 0x6
	global_load_b32 v21, v6, s[14:15] scale_offset
	global_load_b32 v20, v6, s[16:17] scale_offset
	;; [unrolled: 1-line block ×7, first 2 shown]
	v_ashrrev_i32_e32 v7, 31, v6
	s_delay_alu instid0(VALU_DEP_1)
	v_lshlrev_b64_e32 v[2:3], 2, v[6:7]
	s_cbranch_scc1 .LBB4_9
; %bb.1:
	s_load_b128 s[20:23], s[0:1], 0x40
	v_mad_u32 v8, s12, 3, v6
	v_add3_u32 v12, s12, s12, v6
	s_wait_xcnt 0x0
	s_ashr_i32 s1, s12, 31
	s_mov_b32 s0, s12
	v_bfrev_b32_e32 v15, 12
	s_mov_b32 s3, 0x84ee0be9
	v_ashrrev_i32_e32 v13, 31, v12
	s_brev_b32 s12, 12
	s_mov_b32 s24, 0xf8203345
	s_delay_alu instid0(VALU_DEP_4) | instskip(SKIP_3) | instid1(VALU_DEP_3)
	v_ashrrev_i32_e32 v9, 31, v8
	s_wait_kmcnt 0x0
	v_add_nc_u64_e32 v[4:5], s[22:23], v[2:3]
	v_add_nc_u64_e32 v[6:7], s[20:21], v[2:3]
	v_lshl_add_u64 v[8:9], v[8:9], 2, s[20:21]
	v_lshl_add_u64 v[12:13], v[12:13], 2, s[20:21]
	s_mov_b32 s20, 0x28a171f5
	s_mov_b32 s21, 0x6dc9da11
	s_mov_b32 s22, 0x309c3efd
	global_load_b32 v30, v[4:5], off
	v_lshl_add_u64 v[10:11], s[0:1], 2, v[6:7]
	s_mov_b32 s23, 0x18e43479
.LBB4_2:                                ; =>This Inner Loop Header: Depth=1
	s_wait_loadcnt 0x0
	s_wait_xcnt 0x0
	v_mad_u32 v1, 0x1984a2d, v30, 1
	v_mad_u32 v14, v30, s3, 0x1984a2e
	;; [unrolled: 1-line block ×7, first 2 shown]
	v_and_b32_e32 v1, 0x7fffffff, v1
	v_and_b32_e32 v14, 0x7fffffff, v14
	v_and_b32_e32 v26, 0x7fffffff, v22
	v_and_b32_e32 v27, 0x7fffffff, v23
	v_and_b32_e32 v28, 0x7fffffff, v24
	v_and_b32_e32 v29, 0x7fffffff, v25
	v_cvt_f32_u32_e32 v23, v1
	v_cvt_f32_u32_e32 v22, v14
	;; [unrolled: 1-line block ×6, first 2 shown]
	v_pk_fma_f32 v[22:23], v[22:23], s[12:13], -0.5 op_sel_hi:[1,0,0]
	v_and_b32_e32 v30, 0x7fffffff, v30
	v_pk_fma_f32 v[24:25], v[24:25], s[12:13], -0.5 op_sel_hi:[1,0,0]
	s_delay_alu instid0(VALU_DEP_4) | instskip(NEXT) | instid1(VALU_DEP_4)
	v_pk_fma_f32 v[26:27], v[26:27], s[12:13], -0.5 op_sel_hi:[1,0,0]
	v_pk_fma_f32 v[22:23], v[22:23], 2.0, v[20:21] op_sel_hi:[1,0,1]
	s_delay_alu instid0(VALU_DEP_3) | instskip(NEXT) | instid1(VALU_DEP_3)
	v_pk_fma_f32 v[24:25], v[24:25], 2.0, v[18:19] op_sel_hi:[1,0,1]
	v_pk_fma_f32 v[26:27], v[26:27], 2.0, v[16:17] op_sel_hi:[1,0,1]
	s_delay_alu instid0(VALU_DEP_2) | instskip(NEXT) | instid1(VALU_DEP_2)
	v_dual_mov_b32 v28, v23 :: v_dual_mov_b32 v29, v25
	v_pk_mul_f32 v[32:33], v[26:27], v[26:27]
	s_delay_alu instid0(VALU_DEP_2) | instskip(NEXT) | instid1(VALU_DEP_2)
	v_pk_mul_f32 v[34:35], v[28:29], v[28:29]
	v_dual_fma_f32 v1, v24, v24, v33 :: v_dual_mov_b32 v33, v26
	s_delay_alu instid0(VALU_DEP_1) | instskip(NEXT) | instid1(VALU_DEP_1)
	v_dual_fma_f32 v14, v22, v22, v34 :: v_dual_add_f32 v1, v1, v32
	v_dual_add_f32 v14, v14, v35 :: v_dual_mul_f32 v31, 0x4f800000, v1
	v_cmp_gt_f32_e32 vcc_lo, 0xf800000, v1
	s_delay_alu instid0(VALU_DEP_2) | instskip(SKIP_1) | instid1(VALU_DEP_1)
	v_mul_f32_e32 v32, 0x4f800000, v14
	v_cmp_gt_f32_e64 s0, 0xf800000, v14
	v_dual_cndmask_b32 v1, v1, v31, vcc_lo :: v_dual_cndmask_b32 v14, v14, v32, s0
	v_mov_b32_e32 v32, v24
	s_delay_alu instid0(VALU_DEP_2) | instskip(NEXT) | instid1(VALU_DEP_2)
	v_sqrt_f32_e32 v31, v1
	v_sqrt_f32_e32 v34, v14
	s_delay_alu instid0(VALU_DEP_1) | instskip(SKIP_1) | instid1(TRANS32_DEP_2)
	v_pk_add_f32 v[28:29], v[28:29], v[32:33] neg_lo:[0,1] neg_hi:[0,1]
	v_sub_f32_e32 v36, v22, v27
	v_add_nc_u32_e32 v35, -1, v31
	s_delay_alu instid0(VALU_DEP_3) | instskip(NEXT) | instid1(TRANS32_DEP_1)
	v_pk_mul_f32 v[28:29], v[28:29], v[28:29]
	v_dual_add_nc_u32 v37, -1, v34 :: v_dual_add_nc_u32 v38, 1, v31
	s_delay_alu instid0(VALU_DEP_3) | instskip(NEXT) | instid1(VALU_DEP_2)
	v_dual_fma_f32 v40, -v35, v31, v1 :: v_dual_add_nc_u32 v39, 1, v34
	v_dual_fma_f32 v28, v36, v36, v28 :: v_dual_fma_f32 v32, -v37, v34, v14
	s_delay_alu instid0(VALU_DEP_3) | instskip(NEXT) | instid1(VALU_DEP_3)
	v_fma_f32 v33, -v38, v31, v1
	v_cmp_ge_f32_e64 s1, 0, v40
	s_delay_alu instid0(VALU_DEP_1) | instskip(NEXT) | instid1(VALU_DEP_4)
	v_dual_add_f32 v28, v28, v29 :: v_dual_cndmask_b32 v31, v31, v35, s1
	v_cmp_ge_f32_e64 s1, 0, v32
	s_delay_alu instid0(VALU_DEP_1) | instskip(SKIP_1) | instid1(VALU_DEP_1)
	v_dual_fma_f32 v41, -v39, v34, v14 :: v_dual_cndmask_b32 v32, v34, v37, s1
	v_cmp_lt_f32_e64 s1, 0, v33
	v_cndmask_b32_e64 v31, v31, v38, s1
	s_delay_alu instid0(VALU_DEP_3) | instskip(NEXT) | instid1(VALU_DEP_1)
	v_cmp_lt_f32_e64 s1, 0, v41
	v_cndmask_b32_e64 v32, v32, v39, s1
	s_delay_alu instid0(VALU_DEP_1) | instskip(NEXT) | instid1(VALU_DEP_1)
	v_dual_mul_f32 v33, 0x37800000, v31 :: v_dual_mul_f32 v34, 0x37800000, v32
	v_cndmask_b32_e32 v29, v31, v33, vcc_lo
	v_cmp_class_f32_e64 vcc_lo, v1, 0x260
	s_delay_alu instid0(VALU_DEP_1) | instskip(SKIP_1) | instid1(VALU_DEP_2)
	v_dual_cndmask_b32 v32, v32, v34, s0 :: v_dual_cndmask_b32 v31, v29, v1, vcc_lo
	v_cmp_class_f32_e64 vcc_lo, v14, 0x260
	v_cndmask_b32_e32 v32, v32, v14, vcc_lo
	s_delay_alu instid0(VALU_DEP_1) | instskip(NEXT) | instid1(VALU_DEP_1)
	v_add_f32_e32 v14, v32, v31
	v_mul_f32_e32 v29, -2.0, v14
	v_mul_f32_e32 v33, 0x4f800000, v28
	v_cmp_gt_f32_e32 vcc_lo, 0xf800000, v28
	s_delay_alu instid0(VALU_DEP_2) | instskip(NEXT) | instid1(VALU_DEP_4)
	v_cndmask_b32_e32 v1, v28, v33, vcc_lo
	v_mul_f32_e32 v33, 0x3fb8aa3b, v29
	s_delay_alu instid0(VALU_DEP_2) | instskip(NEXT) | instid1(VALU_DEP_1)
	v_sqrt_f32_e32 v28, v1
	v_fma_f32 v36, 0x3fb8aa3b, v29, -v33
	v_rndne_f32_e32 v37, v33
	s_delay_alu instid0(VALU_DEP_2) | instskip(NEXT) | instid1(TRANS32_DEP_1)
	v_fmac_f32_e32 v36, 0x32a5705f, v29
	v_dual_add_nc_u32 v14, -1, v28 :: v_dual_add_nc_u32 v34, 1, v28
	s_delay_alu instid0(VALU_DEP_1) | instskip(NEXT) | instid1(VALU_DEP_2)
	v_fma_f32 v35, -v14, v28, v1
	v_fma_f32 v38, -v34, v28, v1
	s_delay_alu instid0(VALU_DEP_2) | instskip(NEXT) | instid1(VALU_DEP_1)
	v_cmp_ge_f32_e64 s0, 0, v35
	v_dual_cndmask_b32 v14, v28, v14, s0 :: v_dual_sub_f32 v28, v33, v37
	s_delay_alu instid0(VALU_DEP_3) | instskip(NEXT) | instid1(VALU_DEP_1)
	v_cmp_lt_f32_e64 s0, 0, v38
	v_dual_add_f32 v28, v28, v36 :: v_dual_cndmask_b32 v14, v14, v34, s0
	v_cvt_i32_f32_e32 v34, v37
	s_mov_b32 s0, exec_lo
	s_delay_alu instid0(VALU_DEP_2) | instskip(SKIP_1) | instid1(TRANS32_DEP_1)
	v_exp_f32_e32 v28, v28
	v_nop
	v_ldexp_f32 v28, v28, v34
	v_mul_f32_e32 v33, 0x37800000, v14
	s_delay_alu instid0(VALU_DEP_1) | instskip(SKIP_1) | instid1(VALU_DEP_2)
	v_cndmask_b32_e32 v14, v14, v33, vcc_lo
	v_cmp_class_f32_e64 vcc_lo, v1, 0x260
	v_dual_cndmask_b32 v33, v14, v1 :: v_dual_mov_b32 v14, v0
	v_cmp_ngt_f32_e32 vcc_lo, 0xc2ce8ed0, v29
	v_cvt_f32_u32_e32 v1, v30
	s_delay_alu instid0(VALU_DEP_3) | instskip(SKIP_2) | instid1(VALU_DEP_4)
	v_fma_f32 v36, v33, 0.5, 1.0
	v_cndmask_b32_e32 v28, 0, v28, vcc_lo
	v_cmp_nlt_f32_e32 vcc_lo, 0x42b17218, v29
	v_pk_mul_f32 v[34:35], v[0:1], v[14:15]
	s_delay_alu instid0(VALU_DEP_1) | instskip(NEXT) | instid1(VALU_DEP_1)
	v_dual_cndmask_b32 v28, 0x7f800000, v28 :: v_dual_mov_b32 v29, v34
	v_mul_f32_e32 v28, v36, v28
	s_delay_alu instid0(VALU_DEP_1) | instskip(NEXT) | instid1(VALU_DEP_1)
	v_mov_b32_e32 v34, v28
	v_pk_mul_f32 v[34:35], v[28:29], v[34:35]
	s_delay_alu instid0(VALU_DEP_1)
	v_cmpx_ngt_f32_e32 v34, v35
	s_xor_b32 s25, exec_lo, s0
	s_cbranch_execz .LBB4_4
; %bb.3:                                ;   in Loop: Header=BB4_2 Depth=1
	v_dual_mov_b32 v22, v19 :: v_dual_mov_b32 v23, v20
	v_pk_mul_f32 v[24:25], v[16:17], v[16:17]
	v_sub_f32_e32 v14, v21, v18
	s_delay_alu instid0(VALU_DEP_3) | instskip(SKIP_1) | instid1(VALU_DEP_4)
	v_pk_add_f32 v[26:27], v[22:23], v[16:17] neg_lo:[0,1] neg_hi:[0,1]
	v_pk_mul_f32 v[22:23], v[22:23], v[22:23]
	v_fma_f32 v1, v18, v18, v25
	s_delay_alu instid0(VALU_DEP_3) | instskip(NEXT) | instid1(VALU_DEP_1)
	v_pk_mul_f32 v[26:27], v[26:27], v[26:27]
	v_dual_add_f32 v1, v24, v1 :: v_dual_fma_f32 v14, v14, v14, v27
	s_delay_alu instid0(VALU_DEP_4) | instskip(NEXT) | instid1(VALU_DEP_2)
	v_fma_f32 v23, v21, v21, v23
	v_cmp_gt_f32_e32 vcc_lo, 0xf800000, v1
	s_delay_alu instid0(VALU_DEP_3) | instskip(NEXT) | instid1(VALU_DEP_3)
	v_add_f32_e32 v14, v26, v14
	v_dual_add_f32 v22, v22, v23 :: v_dual_mul_f32 v23, 0x4f800000, v1
	s_delay_alu instid0(VALU_DEP_2) | instskip(NEXT) | instid1(VALU_DEP_2)
	v_cmp_gt_f32_e64 s1, 0xf800000, v14
	v_dual_mul_f32 v24, 0x4f800000, v22 :: v_dual_cndmask_b32 v1, v1, v23
	v_cmp_gt_f32_e64 s0, 0xf800000, v22
	s_delay_alu instid0(VALU_DEP_1) | instskip(NEXT) | instid1(VALU_DEP_3)
	v_cndmask_b32_e64 v26, v22, v24, s0
	v_sqrt_f32_e32 v22, v1
	v_nop
	s_delay_alu instid0(TRANS32_DEP_1) | instskip(NEXT) | instid1(VALU_DEP_3)
	v_add_nc_u32_e32 v27, -1, v22
	v_sqrt_f32_e32 v24, v26
	v_nop
	s_delay_alu instid0(TRANS32_DEP_1) | instskip(NEXT) | instid1(VALU_DEP_1)
	v_dual_mul_f32 v23, 0x4f800000, v14 :: v_dual_add_nc_u32 v28, -1, v24
	v_dual_cndmask_b32 v14, v14, v23, s1 :: v_dual_mov_b32 v23, v21
	v_dual_add_nc_u32 v21, 1, v22 :: v_dual_add_nc_u32 v29, 1, v24
	s_delay_alu instid0(VALU_DEP_3) | instskip(NEXT) | instid1(VALU_DEP_3)
	v_fma_f32 v34, -v28, v24, v26
	v_sqrt_f32_e32 v25, v14
	s_delay_alu instid0(VALU_DEP_2) | instskip(NEXT) | instid1(TRANS32_DEP_1)
	v_dual_fma_f32 v31, -v27, v22, v1 :: v_dual_fma_f32 v33, -v21, v22, v1
	v_dual_fma_f32 v35, -v29, v24, v26 :: v_dual_add_nc_u32 v36, 1, v25
	v_add_nc_u32_e32 v32, -1, v25
	s_delay_alu instid0(VALU_DEP_3) | instskip(NEXT) | instid1(VALU_DEP_1)
	v_cmp_ge_f32_e64 s2, 0, v31
	v_dual_fma_f32 v37, -v32, v25, v14 :: v_dual_cndmask_b32 v22, v22, v27, s2
	v_cmp_ge_f32_e64 s2, 0, v34
	s_delay_alu instid0(VALU_DEP_1) | instskip(NEXT) | instid1(VALU_DEP_3)
	v_cndmask_b32_e64 v24, v24, v28, s2
	v_cmp_ge_f32_e64 s2, 0, v37
	s_delay_alu instid0(VALU_DEP_1) | instskip(SKIP_1) | instid1(VALU_DEP_1)
	v_dual_fma_f32 v27, -v36, v25, v14 :: v_dual_cndmask_b32 v25, v25, v32, s2
	v_cmp_lt_f32_e64 s2, 0, v33
	v_cndmask_b32_e64 v21, v22, v21, s2
	v_cmp_lt_f32_e64 s2, 0, v35
	v_mov_b32_e32 v22, v20
	s_delay_alu instid0(VALU_DEP_2) | instskip(SKIP_1) | instid1(VALU_DEP_1)
	v_cndmask_b32_e64 v28, v24, v29, s2
	v_cmp_lt_f32_e64 s2, 0, v27
	v_dual_mov_b32 v24, v18 :: v_dual_cndmask_b32 v29, v25, v36, s2
	v_dual_mul_f32 v20, 0x37800000, v21 :: v_dual_mov_b32 v25, v19
	s_delay_alu instid0(VALU_DEP_4) | instskip(NEXT) | instid1(VALU_DEP_2)
	v_mul_f32_e32 v19, 0x37800000, v28
	v_dual_mul_f32 v31, 0x37800000, v29 :: v_dual_cndmask_b32 v18, v21, v20
	v_cmp_class_f32_e64 vcc_lo, v1, 0x260
	s_delay_alu instid0(VALU_DEP_3) | instskip(NEXT) | instid1(VALU_DEP_3)
	v_dual_mov_b32 v27, v17 :: v_dual_cndmask_b32 v17, v28, v19, s0
	v_cndmask_b32_e64 v19, v29, v31, s1
                                        ; implicit-def: $vgpr28
	s_delay_alu instid0(VALU_DEP_4) | instskip(SKIP_1) | instid1(VALU_DEP_4)
	v_cndmask_b32_e32 v31, v18, v1, vcc_lo
	v_cmp_class_f32_e64 vcc_lo, v26, 0x260
	v_cndmask_b32_e32 v32, v17, v26, vcc_lo
	v_cmp_class_f32_e64 vcc_lo, v14, 0x260
	v_dual_mov_b32 v26, v16 :: v_dual_cndmask_b32 v33, v19, v14
.LBB4_4:                                ;   in Loop: Header=BB4_2 Depth=1
	s_and_not1_saveexec_b32 s0, s25
	s_cbranch_execz .LBB4_6
; %bb.5:                                ;   in Loop: Header=BB4_2 Depth=1
	global_load_b32 v0, v[8:9], off
	s_wait_loadcnt 0x0
	v_dual_add_f32 v1, 1.0, v0 :: v_dual_mov_b32 v0, v28
	global_store_b32 v[8:9], v1, off
.LBB4_6:                                ;   in Loop: Header=BB4_2 Depth=1
	s_wait_xcnt 0x0
	s_or_b32 exec_lo, exec_lo, s0
	global_load_b32 v1, v[6:7], off
	s_add_co_i32 s13, s13, -1
	s_delay_alu instid0(SALU_CYCLE_1)
	s_cmp_eq_u32 s13, 0
	s_wait_loadcnt 0x0
	v_add_f32_e32 v1, v1, v32
	s_clause 0x1
	global_store_b32 v[6:7], v1, off
	global_load_b32 v1, v[10:11], off
	s_wait_loadcnt 0x0
	v_add_f32_e32 v1, v31, v1
	s_clause 0x1
	global_store_b32 v[10:11], v1, off
	global_load_b32 v1, v[12:13], off
	s_wait_loadcnt 0x0
	v_add_f32_e32 v1, v1, v33
	global_store_b32 v[12:13], v1, off
	s_cbranch_scc1 .LBB4_8
; %bb.7:                                ;   in Loop: Header=BB4_2 Depth=1
	v_dual_mov_b32 v16, v26 :: v_dual_mov_b32 v17, v27
	v_dual_mov_b32 v18, v24 :: v_dual_mov_b32 v19, v25
	;; [unrolled: 1-line block ×3, first 2 shown]
	s_branch .LBB4_2
.LBB4_8:
	global_store_b32 v[4:5], v30, off
	s_branch .LBB4_10
.LBB4_9:
	s_wait_loadcnt 0x5
	v_dual_mov_b32 v23, v21 :: v_dual_mov_b32 v22, v20
	s_wait_loadcnt 0x3
	v_dual_mov_b32 v25, v19 :: v_dual_mov_b32 v24, v18
	;; [unrolled: 2-line block ×3, first 2 shown]
.LBB4_10:
	s_wait_xcnt 0x0
	v_add_nc_u64_e32 v[4:5], s[14:15], v[2:3]
	v_add_nc_u64_e32 v[6:7], s[16:17], v[2:3]
	;; [unrolled: 1-line block ×7, first 2 shown]
	global_store_b32 v[4:5], v23, off
	global_store_b32 v[6:7], v22, off
	;; [unrolled: 1-line block ×6, first 2 shown]
	s_wait_loadcnt 0x0
	global_store_b32 v[2:3], v0, off
	s_endpgm
	.section	.rodata,"a",@progbits
	.p2align	6, 0x0
	.amdhsa_kernel _Z9propagateiiPfS_S_S_S_S_S_S_Pj
		.amdhsa_group_segment_fixed_size 0
		.amdhsa_private_segment_fixed_size 0
		.amdhsa_kernarg_size 336
		.amdhsa_user_sgpr_count 2
		.amdhsa_user_sgpr_dispatch_ptr 0
		.amdhsa_user_sgpr_queue_ptr 0
		.amdhsa_user_sgpr_kernarg_segment_ptr 1
		.amdhsa_user_sgpr_dispatch_id 0
		.amdhsa_user_sgpr_kernarg_preload_length 0
		.amdhsa_user_sgpr_kernarg_preload_offset 0
		.amdhsa_user_sgpr_private_segment_size 0
		.amdhsa_wavefront_size32 1
		.amdhsa_uses_dynamic_stack 0
		.amdhsa_enable_private_segment 0
		.amdhsa_system_sgpr_workgroup_id_x 1
		.amdhsa_system_sgpr_workgroup_id_y 0
		.amdhsa_system_sgpr_workgroup_id_z 0
		.amdhsa_system_sgpr_workgroup_info 0
		.amdhsa_system_vgpr_workitem_id 0
		.amdhsa_next_free_vgpr 42
		.amdhsa_next_free_sgpr 26
		.amdhsa_named_barrier_count 0
		.amdhsa_reserve_vcc 1
		.amdhsa_float_round_mode_32 0
		.amdhsa_float_round_mode_16_64 0
		.amdhsa_float_denorm_mode_32 3
		.amdhsa_float_denorm_mode_16_64 3
		.amdhsa_fp16_overflow 0
		.amdhsa_memory_ordered 1
		.amdhsa_forward_progress 1
		.amdhsa_inst_pref_size 17
		.amdhsa_round_robin_scheduling 0
		.amdhsa_exception_fp_ieee_invalid_op 0
		.amdhsa_exception_fp_denorm_src 0
		.amdhsa_exception_fp_ieee_div_zero 0
		.amdhsa_exception_fp_ieee_overflow 0
		.amdhsa_exception_fp_ieee_underflow 0
		.amdhsa_exception_fp_ieee_inexact 0
		.amdhsa_exception_int_div_zero 0
	.end_amdhsa_kernel
	.text
.Lfunc_end4:
	.size	_Z9propagateiiPfS_S_S_S_S_S_S_Pj, .Lfunc_end4-_Z9propagateiiPfS_S_S_S_S_S_S_Pj
                                        ; -- End function
	.set _Z9propagateiiPfS_S_S_S_S_S_S_Pj.num_vgpr, 42
	.set _Z9propagateiiPfS_S_S_S_S_S_S_Pj.num_agpr, 0
	.set _Z9propagateiiPfS_S_S_S_S_S_S_Pj.numbered_sgpr, 26
	.set _Z9propagateiiPfS_S_S_S_S_S_S_Pj.num_named_barrier, 0
	.set _Z9propagateiiPfS_S_S_S_S_S_S_Pj.private_seg_size, 0
	.set _Z9propagateiiPfS_S_S_S_S_S_S_Pj.uses_vcc, 1
	.set _Z9propagateiiPfS_S_S_S_S_S_S_Pj.uses_flat_scratch, 0
	.set _Z9propagateiiPfS_S_S_S_S_S_S_Pj.has_dyn_sized_stack, 0
	.set _Z9propagateiiPfS_S_S_S_S_S_S_Pj.has_recursion, 0
	.set _Z9propagateiiPfS_S_S_S_S_S_S_Pj.has_indirect_call, 0
	.section	.AMDGPU.csdata,"",@progbits
; Kernel info:
; codeLenInByte = 2148
; TotalNumSgprs: 28
; NumVgprs: 42
; ScratchSize: 0
; MemoryBound: 0
; FloatMode: 240
; IeeeMode: 1
; LDSByteSize: 0 bytes/workgroup (compile time only)
; SGPRBlocks: 0
; VGPRBlocks: 2
; NumSGPRsForWavesPerEU: 28
; NumVGPRsForWavesPerEU: 42
; NamedBarCnt: 0
; Occupancy: 16
; WaveLimiterHint : 0
; COMPUTE_PGM_RSRC2:SCRATCH_EN: 0
; COMPUTE_PGM_RSRC2:USER_SGPR: 2
; COMPUTE_PGM_RSRC2:TRAP_HANDLER: 0
; COMPUTE_PGM_RSRC2:TGID_X_EN: 1
; COMPUTE_PGM_RSRC2:TGID_Y_EN: 0
; COMPUTE_PGM_RSRC2:TGID_Z_EN: 0
; COMPUTE_PGM_RSRC2:TIDIG_COMP_CNT: 0
	.text
	.p2alignl 7, 3214868480
	.fill 96, 4, 3214868480
	.section	.AMDGPU.gpr_maximums,"",@progbits
	.set amdgpu.max_num_vgpr, 0
	.set amdgpu.max_num_agpr, 0
	.set amdgpu.max_num_sgpr, 0
	.text
	.type	__hip_cuid_1307dd8f14a504af,@object ; @__hip_cuid_1307dd8f14a504af
	.section	.bss,"aw",@nobits
	.globl	__hip_cuid_1307dd8f14a504af
__hip_cuid_1307dd8f14a504af:
	.byte	0                               ; 0x0
	.size	__hip_cuid_1307dd8f14a504af, 1

	.ident	"AMD clang version 22.0.0git (https://github.com/RadeonOpenCompute/llvm-project roc-7.2.4 26084 f58b06dce1f9c15707c5f808fd002e18c2accf7e)"
	.section	".note.GNU-stack","",@progbits
	.addrsig
	.addrsig_sym __hip_cuid_1307dd8f14a504af
	.amdgpu_metadata
---
amdhsa.kernels:
  - .args:
      - .offset:         0
        .size:           4
        .value_kind:     by_value
      - .address_space:  global
        .offset:         8
        .size:           8
        .value_kind:     global_buffer
      - .address_space:  global
        .offset:         16
        .size:           8
        .value_kind:     global_buffer
      - .offset:         24
        .size:           4
        .value_kind:     hidden_block_count_x
      - .offset:         28
        .size:           4
        .value_kind:     hidden_block_count_y
      - .offset:         32
        .size:           4
        .value_kind:     hidden_block_count_z
      - .offset:         36
        .size:           2
        .value_kind:     hidden_group_size_x
      - .offset:         38
        .size:           2
        .value_kind:     hidden_group_size_y
      - .offset:         40
        .size:           2
        .value_kind:     hidden_group_size_z
      - .offset:         42
        .size:           2
        .value_kind:     hidden_remainder_x
      - .offset:         44
        .size:           2
        .value_kind:     hidden_remainder_y
      - .offset:         46
        .size:           2
        .value_kind:     hidden_remainder_z
      - .offset:         64
        .size:           8
        .value_kind:     hidden_global_offset_x
      - .offset:         72
        .size:           8
        .value_kind:     hidden_global_offset_y
      - .offset:         80
        .size:           8
        .value_kind:     hidden_global_offset_z
      - .offset:         88
        .size:           2
        .value_kind:     hidden_grid_dims
    .group_segment_fixed_size: 2048
    .kernarg_segment_align: 8
    .kernarg_segment_size: 280
    .language:       OpenCL C
    .language_version:
      - 2
      - 0
    .max_flat_workgroup_size: 1024
    .name:           _Z15SumWithinBlocksiPKfPf
    .private_segment_fixed_size: 0
    .sgpr_count:     15
    .sgpr_spill_count: 0
    .symbol:         _Z15SumWithinBlocksiPKfPf.kd
    .uniform_work_group_size: 1
    .uses_dynamic_stack: false
    .vgpr_count:     6
    .vgpr_spill_count: 0
    .wavefront_size: 32
  - .args:
      - .offset:         0
        .size:           4
        .value_kind:     by_value
      - .address_space:  global
        .offset:         8
        .size:           8
        .value_kind:     global_buffer
      - .offset:         16
        .size:           4
        .value_kind:     hidden_block_count_x
      - .offset:         20
        .size:           4
        .value_kind:     hidden_block_count_y
      - .offset:         24
        .size:           4
        .value_kind:     hidden_block_count_z
      - .offset:         28
        .size:           2
        .value_kind:     hidden_group_size_x
      - .offset:         30
        .size:           2
        .value_kind:     hidden_group_size_y
      - .offset:         32
        .size:           2
        .value_kind:     hidden_group_size_z
      - .offset:         34
        .size:           2
        .value_kind:     hidden_remainder_x
      - .offset:         36
        .size:           2
        .value_kind:     hidden_remainder_y
      - .offset:         38
        .size:           2
        .value_kind:     hidden_remainder_z
      - .offset:         56
        .size:           8
        .value_kind:     hidden_global_offset_x
      - .offset:         64
        .size:           8
        .value_kind:     hidden_global_offset_y
      - .offset:         72
        .size:           8
        .value_kind:     hidden_global_offset_z
      - .offset:         80
        .size:           2
        .value_kind:     hidden_grid_dims
    .group_segment_fixed_size: 0
    .kernarg_segment_align: 8
    .kernarg_segment_size: 272
    .language:       OpenCL C
    .language_version:
      - 2
      - 0
    .max_flat_workgroup_size: 1024
    .name:           _Z7initranjPj
    .private_segment_fixed_size: 0
    .sgpr_count:     7
    .sgpr_spill_count: 0
    .symbol:         _Z7initranjPj.kd
    .uniform_work_group_size: 1
    .uses_dynamic_stack: false
    .vgpr_count:     2
    .vgpr_spill_count: 0
    .wavefront_size: 32
  - .args:
      - .offset:         0
        .size:           4
        .value_kind:     by_value
      - .address_space:  global
        .offset:         8
        .size:           8
        .value_kind:     global_buffer
      - .offset:         16
        .size:           4
        .value_kind:     hidden_block_count_x
      - .offset:         20
        .size:           4
        .value_kind:     hidden_block_count_y
      - .offset:         24
        .size:           4
        .value_kind:     hidden_block_count_z
      - .offset:         28
        .size:           2
        .value_kind:     hidden_group_size_x
      - .offset:         30
        .size:           2
        .value_kind:     hidden_group_size_y
      - .offset:         32
        .size:           2
        .value_kind:     hidden_group_size_z
      - .offset:         34
        .size:           2
        .value_kind:     hidden_remainder_x
      - .offset:         36
        .size:           2
        .value_kind:     hidden_remainder_y
      - .offset:         38
        .size:           2
        .value_kind:     hidden_remainder_z
      - .offset:         56
        .size:           8
        .value_kind:     hidden_global_offset_x
      - .offset:         64
        .size:           8
        .value_kind:     hidden_global_offset_y
      - .offset:         72
        .size:           8
        .value_kind:     hidden_global_offset_z
      - .offset:         80
        .size:           2
        .value_kind:     hidden_grid_dims
    .group_segment_fixed_size: 0
    .kernarg_segment_align: 8
    .kernarg_segment_size: 272
    .language:       OpenCL C
    .language_version:
      - 2
      - 0
    .max_flat_workgroup_size: 1024
    .name:           _Z10zero_statsiPf
    .private_segment_fixed_size: 0
    .sgpr_count:     7
    .sgpr_spill_count: 0
    .symbol:         _Z10zero_statsiPf.kd
    .uniform_work_group_size: 1
    .uses_dynamic_stack: false
    .vgpr_count:     6
    .vgpr_spill_count: 0
    .wavefront_size: 32
  - .args:
      - .actual_access:  write_only
        .address_space:  global
        .offset:         0
        .size:           8
        .value_kind:     global_buffer
      - .actual_access:  write_only
        .address_space:  global
        .offset:         8
        .size:           8
        .value_kind:     global_buffer
      - .actual_access:  write_only
        .address_space:  global
        .offset:         16
        .size:           8
        .value_kind:     global_buffer
      - .actual_access:  write_only
        .address_space:  global
        .offset:         24
        .size:           8
        .value_kind:     global_buffer
      - .actual_access:  write_only
        .address_space:  global
        .offset:         32
        .size:           8
        .value_kind:     global_buffer
      - .actual_access:  write_only
        .address_space:  global
        .offset:         40
        .size:           8
        .value_kind:     global_buffer
      - .actual_access:  write_only
        .address_space:  global
        .offset:         48
        .size:           8
        .value_kind:     global_buffer
      - .address_space:  global
        .offset:         56
        .size:           8
        .value_kind:     global_buffer
      - .offset:         64
        .size:           4
        .value_kind:     hidden_block_count_x
      - .offset:         68
        .size:           4
        .value_kind:     hidden_block_count_y
      - .offset:         72
        .size:           4
        .value_kind:     hidden_block_count_z
      - .offset:         76
        .size:           2
        .value_kind:     hidden_group_size_x
      - .offset:         78
        .size:           2
        .value_kind:     hidden_group_size_y
      - .offset:         80
        .size:           2
        .value_kind:     hidden_group_size_z
      - .offset:         82
        .size:           2
        .value_kind:     hidden_remainder_x
      - .offset:         84
        .size:           2
        .value_kind:     hidden_remainder_y
      - .offset:         86
        .size:           2
        .value_kind:     hidden_remainder_z
      - .offset:         104
        .size:           8
        .value_kind:     hidden_global_offset_x
      - .offset:         112
        .size:           8
        .value_kind:     hidden_global_offset_y
      - .offset:         120
        .size:           8
        .value_kind:     hidden_global_offset_z
      - .offset:         128
        .size:           2
        .value_kind:     hidden_grid_dims
    .group_segment_fixed_size: 0
    .kernarg_segment_align: 8
    .kernarg_segment_size: 320
    .language:       OpenCL C
    .language_version:
      - 2
      - 0
    .max_flat_workgroup_size: 1024
    .name:           _Z10initializePfS_S_S_S_S_S_Pj
    .private_segment_fixed_size: 0
    .sgpr_count:     22
    .sgpr_spill_count: 0
    .symbol:         _Z10initializePfS_S_S_S_S_S_Pj.kd
    .uniform_work_group_size: 1
    .uses_dynamic_stack: false
    .vgpr_count:     23
    .vgpr_spill_count: 0
    .wavefront_size: 32
  - .args:
      - .offset:         0
        .size:           4
        .value_kind:     by_value
      - .offset:         4
        .size:           4
        .value_kind:     by_value
      - .address_space:  global
        .offset:         8
        .size:           8
        .value_kind:     global_buffer
      - .address_space:  global
        .offset:         16
        .size:           8
        .value_kind:     global_buffer
      - .address_space:  global
        .offset:         24
        .size:           8
        .value_kind:     global_buffer
      - .address_space:  global
        .offset:         32
        .size:           8
        .value_kind:     global_buffer
      - .address_space:  global
        .offset:         40
        .size:           8
        .value_kind:     global_buffer
      - .address_space:  global
        .offset:         48
        .size:           8
        .value_kind:     global_buffer
      - .address_space:  global
        .offset:         56
        .size:           8
        .value_kind:     global_buffer
      - .address_space:  global
        .offset:         64
        .size:           8
        .value_kind:     global_buffer
      - .address_space:  global
        .offset:         72
        .size:           8
        .value_kind:     global_buffer
      - .offset:         80
        .size:           4
        .value_kind:     hidden_block_count_x
      - .offset:         84
        .size:           4
        .value_kind:     hidden_block_count_y
      - .offset:         88
        .size:           4
        .value_kind:     hidden_block_count_z
      - .offset:         92
        .size:           2
        .value_kind:     hidden_group_size_x
      - .offset:         94
        .size:           2
        .value_kind:     hidden_group_size_y
      - .offset:         96
        .size:           2
        .value_kind:     hidden_group_size_z
      - .offset:         98
        .size:           2
        .value_kind:     hidden_remainder_x
      - .offset:         100
        .size:           2
        .value_kind:     hidden_remainder_y
      - .offset:         102
        .size:           2
        .value_kind:     hidden_remainder_z
      - .offset:         120
        .size:           8
        .value_kind:     hidden_global_offset_x
      - .offset:         128
        .size:           8
        .value_kind:     hidden_global_offset_y
      - .offset:         136
        .size:           8
        .value_kind:     hidden_global_offset_z
      - .offset:         144
        .size:           2
        .value_kind:     hidden_grid_dims
    .group_segment_fixed_size: 0
    .kernarg_segment_align: 8
    .kernarg_segment_size: 336
    .language:       OpenCL C
    .language_version:
      - 2
      - 0
    .max_flat_workgroup_size: 1024
    .name:           _Z9propagateiiPfS_S_S_S_S_S_S_Pj
    .private_segment_fixed_size: 0
    .sgpr_count:     28
    .sgpr_spill_count: 0
    .symbol:         _Z9propagateiiPfS_S_S_S_S_S_S_Pj.kd
    .uniform_work_group_size: 1
    .uses_dynamic_stack: false
    .vgpr_count:     42
    .vgpr_spill_count: 0
    .wavefront_size: 32
amdhsa.target:   amdgcn-amd-amdhsa--gfx1250
amdhsa.version:
  - 1
  - 2
...

	.end_amdgpu_metadata
